;; amdgpu-corpus repo=LLNL/RAJAPerf kind=compiled arch=gfx906 opt=O3
	.amdgcn_target "amdgcn-amd-amdhsa--gfx906"
	.amdhsa_code_object_version 6
	.section	.text._ZN8rajaperf9algorithm23atomic_replicate_threadILm256ELm4096EEEvPdl,"axG",@progbits,_ZN8rajaperf9algorithm23atomic_replicate_threadILm256ELm4096EEEvPdl,comdat
	.protected	_ZN8rajaperf9algorithm23atomic_replicate_threadILm256ELm4096EEEvPdl ; -- Begin function _ZN8rajaperf9algorithm23atomic_replicate_threadILm256ELm4096EEEvPdl
	.globl	_ZN8rajaperf9algorithm23atomic_replicate_threadILm256ELm4096EEEvPdl
	.p2align	8
	.type	_ZN8rajaperf9algorithm23atomic_replicate_threadILm256ELm4096EEEvPdl,@function
_ZN8rajaperf9algorithm23atomic_replicate_threadILm256ELm4096EEEvPdl: ; @_ZN8rajaperf9algorithm23atomic_replicate_threadILm256ELm4096EEEvPdl
; %bb.0:
	s_load_dwordx4 s[0:3], s[4:5], 0x0
	s_mov_b32 s7, 0
	s_lshl_b64 s[4:5], s[6:7], 8
	v_or_b32_e32 v0, s4, v0
	v_mov_b32_e32 v1, s5
	s_waitcnt lgkmcnt(0)
	v_cmp_gt_i64_e32 vcc, s[2:3], v[0:1]
	s_and_saveexec_b64 s[2:3], vcc
	s_cbranch_execz .LBB0_3
; %bb.1:
	v_and_b32_e32 v0, 0xfff, v0
	v_lshlrev_b32_e32 v0, 3, v0
	global_load_dwordx2 v[2:3], v0, s[0:1]
	v_mov_b32_e32 v1, s1
	v_add_co_u32_e32 v4, vcc, s0, v0
	v_addc_co_u32_e32 v5, vcc, 0, v1, vcc
	s_mov_b64 s[0:1], 0
.LBB0_2:                                ; =>This Inner Loop Header: Depth=1
	s_waitcnt vmcnt(0)
	v_add_f64 v[0:1], v[2:3], 1.0
	global_atomic_cmpswap_x2 v[0:1], v[4:5], v[0:3], off glc
	s_waitcnt vmcnt(0)
	v_cmp_eq_u64_e32 vcc, v[0:1], v[2:3]
	v_mov_b32_e32 v3, v1
	s_or_b64 s[0:1], vcc, s[0:1]
	v_mov_b32_e32 v2, v0
	s_andn2_b64 exec, exec, s[0:1]
	s_cbranch_execnz .LBB0_2
.LBB0_3:
	s_endpgm
	.section	.rodata,"a",@progbits
	.p2align	6, 0x0
	.amdhsa_kernel _ZN8rajaperf9algorithm23atomic_replicate_threadILm256ELm4096EEEvPdl
		.amdhsa_group_segment_fixed_size 0
		.amdhsa_private_segment_fixed_size 0
		.amdhsa_kernarg_size 16
		.amdhsa_user_sgpr_count 6
		.amdhsa_user_sgpr_private_segment_buffer 1
		.amdhsa_user_sgpr_dispatch_ptr 0
		.amdhsa_user_sgpr_queue_ptr 0
		.amdhsa_user_sgpr_kernarg_segment_ptr 1
		.amdhsa_user_sgpr_dispatch_id 0
		.amdhsa_user_sgpr_flat_scratch_init 0
		.amdhsa_user_sgpr_private_segment_size 0
		.amdhsa_uses_dynamic_stack 0
		.amdhsa_system_sgpr_private_segment_wavefront_offset 0
		.amdhsa_system_sgpr_workgroup_id_x 1
		.amdhsa_system_sgpr_workgroup_id_y 0
		.amdhsa_system_sgpr_workgroup_id_z 0
		.amdhsa_system_sgpr_workgroup_info 0
		.amdhsa_system_vgpr_workitem_id 0
		.amdhsa_next_free_vgpr 6
		.amdhsa_next_free_sgpr 8
		.amdhsa_reserve_vcc 1
		.amdhsa_reserve_flat_scratch 0
		.amdhsa_float_round_mode_32 0
		.amdhsa_float_round_mode_16_64 0
		.amdhsa_float_denorm_mode_32 3
		.amdhsa_float_denorm_mode_16_64 3
		.amdhsa_dx10_clamp 1
		.amdhsa_ieee_mode 1
		.amdhsa_fp16_overflow 0
		.amdhsa_exception_fp_ieee_invalid_op 0
		.amdhsa_exception_fp_denorm_src 0
		.amdhsa_exception_fp_ieee_div_zero 0
		.amdhsa_exception_fp_ieee_overflow 0
		.amdhsa_exception_fp_ieee_underflow 0
		.amdhsa_exception_fp_ieee_inexact 0
		.amdhsa_exception_int_div_zero 0
	.end_amdhsa_kernel
	.section	.text._ZN8rajaperf9algorithm23atomic_replicate_threadILm256ELm4096EEEvPdl,"axG",@progbits,_ZN8rajaperf9algorithm23atomic_replicate_threadILm256ELm4096EEEvPdl,comdat
.Lfunc_end0:
	.size	_ZN8rajaperf9algorithm23atomic_replicate_threadILm256ELm4096EEEvPdl, .Lfunc_end0-_ZN8rajaperf9algorithm23atomic_replicate_threadILm256ELm4096EEEvPdl
                                        ; -- End function
	.set _ZN8rajaperf9algorithm23atomic_replicate_threadILm256ELm4096EEEvPdl.num_vgpr, 6
	.set _ZN8rajaperf9algorithm23atomic_replicate_threadILm256ELm4096EEEvPdl.num_agpr, 0
	.set _ZN8rajaperf9algorithm23atomic_replicate_threadILm256ELm4096EEEvPdl.numbered_sgpr, 8
	.set _ZN8rajaperf9algorithm23atomic_replicate_threadILm256ELm4096EEEvPdl.num_named_barrier, 0
	.set _ZN8rajaperf9algorithm23atomic_replicate_threadILm256ELm4096EEEvPdl.private_seg_size, 0
	.set _ZN8rajaperf9algorithm23atomic_replicate_threadILm256ELm4096EEEvPdl.uses_vcc, 1
	.set _ZN8rajaperf9algorithm23atomic_replicate_threadILm256ELm4096EEEvPdl.uses_flat_scratch, 0
	.set _ZN8rajaperf9algorithm23atomic_replicate_threadILm256ELm4096EEEvPdl.has_dyn_sized_stack, 0
	.set _ZN8rajaperf9algorithm23atomic_replicate_threadILm256ELm4096EEEvPdl.has_recursion, 0
	.set _ZN8rajaperf9algorithm23atomic_replicate_threadILm256ELm4096EEEvPdl.has_indirect_call, 0
	.section	.AMDGPU.csdata,"",@progbits
; Kernel info:
; codeLenInByte = 128
; TotalNumSgprs: 12
; NumVgprs: 6
; ScratchSize: 0
; MemoryBound: 0
; FloatMode: 240
; IeeeMode: 1
; LDSByteSize: 0 bytes/workgroup (compile time only)
; SGPRBlocks: 1
; VGPRBlocks: 1
; NumSGPRsForWavesPerEU: 12
; NumVGPRsForWavesPerEU: 6
; Occupancy: 10
; WaveLimiterHint : 0
; COMPUTE_PGM_RSRC2:SCRATCH_EN: 0
; COMPUTE_PGM_RSRC2:USER_SGPR: 6
; COMPUTE_PGM_RSRC2:TRAP_HANDLER: 0
; COMPUTE_PGM_RSRC2:TGID_X_EN: 1
; COMPUTE_PGM_RSRC2:TGID_Y_EN: 0
; COMPUTE_PGM_RSRC2:TGID_Z_EN: 0
; COMPUTE_PGM_RSRC2:TIDIG_COMP_CNT: 0
	.section	.text._ZN4RAJA6policy3hip4impl18forallp_hip_kernelINS1_8hip_execINS_17iteration_mapping6DirectENS_3hip11IndexGlobalILNS_9named_dimE0ELi256ELi0EEENS7_40AvoidDeviceMaxThreadOccupancyConcretizerINS7_34FractionOffsetOccupancyConcretizerINS_8FractionImLm1ELm1EEELln1EEEEELb1EEENS_9Iterators16numeric_iteratorIllPlEEZN8rajaperf9algorithm6ATOMIC28runHipVariantReplicateGlobalILm256ELm4096EEEvNSM_9VariantIDEEUllE_lNS_4expt15ForallParamPackIJEEES6_SA_TnNSt9enable_ifIXaasr3std10is_base_ofINS5_10DirectBaseET4_EE5valuegtsrT5_10block_sizeLi0EEmE4typeELm256EEEvT1_T0_T2_T3_,"axG",@progbits,_ZN4RAJA6policy3hip4impl18forallp_hip_kernelINS1_8hip_execINS_17iteration_mapping6DirectENS_3hip11IndexGlobalILNS_9named_dimE0ELi256ELi0EEENS7_40AvoidDeviceMaxThreadOccupancyConcretizerINS7_34FractionOffsetOccupancyConcretizerINS_8FractionImLm1ELm1EEELln1EEEEELb1EEENS_9Iterators16numeric_iteratorIllPlEEZN8rajaperf9algorithm6ATOMIC28runHipVariantReplicateGlobalILm256ELm4096EEEvNSM_9VariantIDEEUllE_lNS_4expt15ForallParamPackIJEEES6_SA_TnNSt9enable_ifIXaasr3std10is_base_ofINS5_10DirectBaseET4_EE5valuegtsrT5_10block_sizeLi0EEmE4typeELm256EEEvT1_T0_T2_T3_,comdat
	.protected	_ZN4RAJA6policy3hip4impl18forallp_hip_kernelINS1_8hip_execINS_17iteration_mapping6DirectENS_3hip11IndexGlobalILNS_9named_dimE0ELi256ELi0EEENS7_40AvoidDeviceMaxThreadOccupancyConcretizerINS7_34FractionOffsetOccupancyConcretizerINS_8FractionImLm1ELm1EEELln1EEEEELb1EEENS_9Iterators16numeric_iteratorIllPlEEZN8rajaperf9algorithm6ATOMIC28runHipVariantReplicateGlobalILm256ELm4096EEEvNSM_9VariantIDEEUllE_lNS_4expt15ForallParamPackIJEEES6_SA_TnNSt9enable_ifIXaasr3std10is_base_ofINS5_10DirectBaseET4_EE5valuegtsrT5_10block_sizeLi0EEmE4typeELm256EEEvT1_T0_T2_T3_ ; -- Begin function _ZN4RAJA6policy3hip4impl18forallp_hip_kernelINS1_8hip_execINS_17iteration_mapping6DirectENS_3hip11IndexGlobalILNS_9named_dimE0ELi256ELi0EEENS7_40AvoidDeviceMaxThreadOccupancyConcretizerINS7_34FractionOffsetOccupancyConcretizerINS_8FractionImLm1ELm1EEELln1EEEEELb1EEENS_9Iterators16numeric_iteratorIllPlEEZN8rajaperf9algorithm6ATOMIC28runHipVariantReplicateGlobalILm256ELm4096EEEvNSM_9VariantIDEEUllE_lNS_4expt15ForallParamPackIJEEES6_SA_TnNSt9enable_ifIXaasr3std10is_base_ofINS5_10DirectBaseET4_EE5valuegtsrT5_10block_sizeLi0EEmE4typeELm256EEEvT1_T0_T2_T3_
	.globl	_ZN4RAJA6policy3hip4impl18forallp_hip_kernelINS1_8hip_execINS_17iteration_mapping6DirectENS_3hip11IndexGlobalILNS_9named_dimE0ELi256ELi0EEENS7_40AvoidDeviceMaxThreadOccupancyConcretizerINS7_34FractionOffsetOccupancyConcretizerINS_8FractionImLm1ELm1EEELln1EEEEELb1EEENS_9Iterators16numeric_iteratorIllPlEEZN8rajaperf9algorithm6ATOMIC28runHipVariantReplicateGlobalILm256ELm4096EEEvNSM_9VariantIDEEUllE_lNS_4expt15ForallParamPackIJEEES6_SA_TnNSt9enable_ifIXaasr3std10is_base_ofINS5_10DirectBaseET4_EE5valuegtsrT5_10block_sizeLi0EEmE4typeELm256EEEvT1_T0_T2_T3_
	.p2align	8
	.type	_ZN4RAJA6policy3hip4impl18forallp_hip_kernelINS1_8hip_execINS_17iteration_mapping6DirectENS_3hip11IndexGlobalILNS_9named_dimE0ELi256ELi0EEENS7_40AvoidDeviceMaxThreadOccupancyConcretizerINS7_34FractionOffsetOccupancyConcretizerINS_8FractionImLm1ELm1EEELln1EEEEELb1EEENS_9Iterators16numeric_iteratorIllPlEEZN8rajaperf9algorithm6ATOMIC28runHipVariantReplicateGlobalILm256ELm4096EEEvNSM_9VariantIDEEUllE_lNS_4expt15ForallParamPackIJEEES6_SA_TnNSt9enable_ifIXaasr3std10is_base_ofINS5_10DirectBaseET4_EE5valuegtsrT5_10block_sizeLi0EEmE4typeELm256EEEvT1_T0_T2_T3_,@function
_ZN4RAJA6policy3hip4impl18forallp_hip_kernelINS1_8hip_execINS_17iteration_mapping6DirectENS_3hip11IndexGlobalILNS_9named_dimE0ELi256ELi0EEENS7_40AvoidDeviceMaxThreadOccupancyConcretizerINS7_34FractionOffsetOccupancyConcretizerINS_8FractionImLm1ELm1EEELln1EEEEELb1EEENS_9Iterators16numeric_iteratorIllPlEEZN8rajaperf9algorithm6ATOMIC28runHipVariantReplicateGlobalILm256ELm4096EEEvNSM_9VariantIDEEUllE_lNS_4expt15ForallParamPackIJEEES6_SA_TnNSt9enable_ifIXaasr3std10is_base_ofINS5_10DirectBaseET4_EE5valuegtsrT5_10block_sizeLi0EEmE4typeELm256EEEvT1_T0_T2_T3_: ; @_ZN4RAJA6policy3hip4impl18forallp_hip_kernelINS1_8hip_execINS_17iteration_mapping6DirectENS_3hip11IndexGlobalILNS_9named_dimE0ELi256ELi0EEENS7_40AvoidDeviceMaxThreadOccupancyConcretizerINS7_34FractionOffsetOccupancyConcretizerINS_8FractionImLm1ELm1EEELln1EEEEELb1EEENS_9Iterators16numeric_iteratorIllPlEEZN8rajaperf9algorithm6ATOMIC28runHipVariantReplicateGlobalILm256ELm4096EEEvNSM_9VariantIDEEUllE_lNS_4expt15ForallParamPackIJEEES6_SA_TnNSt9enable_ifIXaasr3std10is_base_ofINS5_10DirectBaseET4_EE5valuegtsrT5_10block_sizeLi0EEmE4typeELm256EEEvT1_T0_T2_T3_
; %bb.0:
	s_load_dwordx2 s[0:1], s[4:5], 0x10
	s_mov_b32 s7, 0
	s_lshl_b64 s[2:3], s[6:7], 8
	v_or_b32_e32 v0, s2, v0
	v_mov_b32_e32 v1, s3
	s_waitcnt lgkmcnt(0)
	v_cmp_gt_i64_e32 vcc, s[0:1], v[0:1]
	s_and_saveexec_b64 s[0:1], vcc
	s_cbranch_execz .LBB1_3
; %bb.1:
	s_load_dwordx4 s[0:3], s[4:5], 0x0
	s_waitcnt lgkmcnt(0)
	v_add_u32_e32 v0, s2, v0
	v_and_b32_e32 v0, 0xfff, v0
	v_lshlrev_b32_e32 v0, 3, v0
	global_load_dwordx2 v[2:3], v0, s[0:1]
	v_mov_b32_e32 v1, s1
	v_add_co_u32_e32 v4, vcc, s0, v0
	v_addc_co_u32_e32 v5, vcc, 0, v1, vcc
	s_mov_b64 s[0:1], 0
.LBB1_2:                                ; =>This Inner Loop Header: Depth=1
	s_waitcnt vmcnt(0)
	v_add_f64 v[0:1], v[2:3], 1.0
	global_atomic_cmpswap_x2 v[0:1], v[4:5], v[0:3], off glc
	s_waitcnt vmcnt(0)
	v_cmp_eq_u64_e32 vcc, v[0:1], v[2:3]
	v_mov_b32_e32 v3, v1
	s_or_b64 s[0:1], vcc, s[0:1]
	v_mov_b32_e32 v2, v0
	s_andn2_b64 exec, exec, s[0:1]
	s_cbranch_execnz .LBB1_2
.LBB1_3:
	s_endpgm
	.section	.rodata,"a",@progbits
	.p2align	6, 0x0
	.amdhsa_kernel _ZN4RAJA6policy3hip4impl18forallp_hip_kernelINS1_8hip_execINS_17iteration_mapping6DirectENS_3hip11IndexGlobalILNS_9named_dimE0ELi256ELi0EEENS7_40AvoidDeviceMaxThreadOccupancyConcretizerINS7_34FractionOffsetOccupancyConcretizerINS_8FractionImLm1ELm1EEELln1EEEEELb1EEENS_9Iterators16numeric_iteratorIllPlEEZN8rajaperf9algorithm6ATOMIC28runHipVariantReplicateGlobalILm256ELm4096EEEvNSM_9VariantIDEEUllE_lNS_4expt15ForallParamPackIJEEES6_SA_TnNSt9enable_ifIXaasr3std10is_base_ofINS5_10DirectBaseET4_EE5valuegtsrT5_10block_sizeLi0EEmE4typeELm256EEEvT1_T0_T2_T3_
		.amdhsa_group_segment_fixed_size 0
		.amdhsa_private_segment_fixed_size 0
		.amdhsa_kernarg_size 28
		.amdhsa_user_sgpr_count 6
		.amdhsa_user_sgpr_private_segment_buffer 1
		.amdhsa_user_sgpr_dispatch_ptr 0
		.amdhsa_user_sgpr_queue_ptr 0
		.amdhsa_user_sgpr_kernarg_segment_ptr 1
		.amdhsa_user_sgpr_dispatch_id 0
		.amdhsa_user_sgpr_flat_scratch_init 0
		.amdhsa_user_sgpr_private_segment_size 0
		.amdhsa_uses_dynamic_stack 0
		.amdhsa_system_sgpr_private_segment_wavefront_offset 0
		.amdhsa_system_sgpr_workgroup_id_x 1
		.amdhsa_system_sgpr_workgroup_id_y 0
		.amdhsa_system_sgpr_workgroup_id_z 0
		.amdhsa_system_sgpr_workgroup_info 0
		.amdhsa_system_vgpr_workitem_id 0
		.amdhsa_next_free_vgpr 6
		.amdhsa_next_free_sgpr 8
		.amdhsa_reserve_vcc 1
		.amdhsa_reserve_flat_scratch 0
		.amdhsa_float_round_mode_32 0
		.amdhsa_float_round_mode_16_64 0
		.amdhsa_float_denorm_mode_32 3
		.amdhsa_float_denorm_mode_16_64 3
		.amdhsa_dx10_clamp 1
		.amdhsa_ieee_mode 1
		.amdhsa_fp16_overflow 0
		.amdhsa_exception_fp_ieee_invalid_op 0
		.amdhsa_exception_fp_denorm_src 0
		.amdhsa_exception_fp_ieee_div_zero 0
		.amdhsa_exception_fp_ieee_overflow 0
		.amdhsa_exception_fp_ieee_underflow 0
		.amdhsa_exception_fp_ieee_inexact 0
		.amdhsa_exception_int_div_zero 0
	.end_amdhsa_kernel
	.section	.text._ZN4RAJA6policy3hip4impl18forallp_hip_kernelINS1_8hip_execINS_17iteration_mapping6DirectENS_3hip11IndexGlobalILNS_9named_dimE0ELi256ELi0EEENS7_40AvoidDeviceMaxThreadOccupancyConcretizerINS7_34FractionOffsetOccupancyConcretizerINS_8FractionImLm1ELm1EEELln1EEEEELb1EEENS_9Iterators16numeric_iteratorIllPlEEZN8rajaperf9algorithm6ATOMIC28runHipVariantReplicateGlobalILm256ELm4096EEEvNSM_9VariantIDEEUllE_lNS_4expt15ForallParamPackIJEEES6_SA_TnNSt9enable_ifIXaasr3std10is_base_ofINS5_10DirectBaseET4_EE5valuegtsrT5_10block_sizeLi0EEmE4typeELm256EEEvT1_T0_T2_T3_,"axG",@progbits,_ZN4RAJA6policy3hip4impl18forallp_hip_kernelINS1_8hip_execINS_17iteration_mapping6DirectENS_3hip11IndexGlobalILNS_9named_dimE0ELi256ELi0EEENS7_40AvoidDeviceMaxThreadOccupancyConcretizerINS7_34FractionOffsetOccupancyConcretizerINS_8FractionImLm1ELm1EEELln1EEEEELb1EEENS_9Iterators16numeric_iteratorIllPlEEZN8rajaperf9algorithm6ATOMIC28runHipVariantReplicateGlobalILm256ELm4096EEEvNSM_9VariantIDEEUllE_lNS_4expt15ForallParamPackIJEEES6_SA_TnNSt9enable_ifIXaasr3std10is_base_ofINS5_10DirectBaseET4_EE5valuegtsrT5_10block_sizeLi0EEmE4typeELm256EEEvT1_T0_T2_T3_,comdat
.Lfunc_end1:
	.size	_ZN4RAJA6policy3hip4impl18forallp_hip_kernelINS1_8hip_execINS_17iteration_mapping6DirectENS_3hip11IndexGlobalILNS_9named_dimE0ELi256ELi0EEENS7_40AvoidDeviceMaxThreadOccupancyConcretizerINS7_34FractionOffsetOccupancyConcretizerINS_8FractionImLm1ELm1EEELln1EEEEELb1EEENS_9Iterators16numeric_iteratorIllPlEEZN8rajaperf9algorithm6ATOMIC28runHipVariantReplicateGlobalILm256ELm4096EEEvNSM_9VariantIDEEUllE_lNS_4expt15ForallParamPackIJEEES6_SA_TnNSt9enable_ifIXaasr3std10is_base_ofINS5_10DirectBaseET4_EE5valuegtsrT5_10block_sizeLi0EEmE4typeELm256EEEvT1_T0_T2_T3_, .Lfunc_end1-_ZN4RAJA6policy3hip4impl18forallp_hip_kernelINS1_8hip_execINS_17iteration_mapping6DirectENS_3hip11IndexGlobalILNS_9named_dimE0ELi256ELi0EEENS7_40AvoidDeviceMaxThreadOccupancyConcretizerINS7_34FractionOffsetOccupancyConcretizerINS_8FractionImLm1ELm1EEELln1EEEEELb1EEENS_9Iterators16numeric_iteratorIllPlEEZN8rajaperf9algorithm6ATOMIC28runHipVariantReplicateGlobalILm256ELm4096EEEvNSM_9VariantIDEEUllE_lNS_4expt15ForallParamPackIJEEES6_SA_TnNSt9enable_ifIXaasr3std10is_base_ofINS5_10DirectBaseET4_EE5valuegtsrT5_10block_sizeLi0EEmE4typeELm256EEEvT1_T0_T2_T3_
                                        ; -- End function
	.set _ZN4RAJA6policy3hip4impl18forallp_hip_kernelINS1_8hip_execINS_17iteration_mapping6DirectENS_3hip11IndexGlobalILNS_9named_dimE0ELi256ELi0EEENS7_40AvoidDeviceMaxThreadOccupancyConcretizerINS7_34FractionOffsetOccupancyConcretizerINS_8FractionImLm1ELm1EEELln1EEEEELb1EEENS_9Iterators16numeric_iteratorIllPlEEZN8rajaperf9algorithm6ATOMIC28runHipVariantReplicateGlobalILm256ELm4096EEEvNSM_9VariantIDEEUllE_lNS_4expt15ForallParamPackIJEEES6_SA_TnNSt9enable_ifIXaasr3std10is_base_ofINS5_10DirectBaseET4_EE5valuegtsrT5_10block_sizeLi0EEmE4typeELm256EEEvT1_T0_T2_T3_.num_vgpr, 6
	.set _ZN4RAJA6policy3hip4impl18forallp_hip_kernelINS1_8hip_execINS_17iteration_mapping6DirectENS_3hip11IndexGlobalILNS_9named_dimE0ELi256ELi0EEENS7_40AvoidDeviceMaxThreadOccupancyConcretizerINS7_34FractionOffsetOccupancyConcretizerINS_8FractionImLm1ELm1EEELln1EEEEELb1EEENS_9Iterators16numeric_iteratorIllPlEEZN8rajaperf9algorithm6ATOMIC28runHipVariantReplicateGlobalILm256ELm4096EEEvNSM_9VariantIDEEUllE_lNS_4expt15ForallParamPackIJEEES6_SA_TnNSt9enable_ifIXaasr3std10is_base_ofINS5_10DirectBaseET4_EE5valuegtsrT5_10block_sizeLi0EEmE4typeELm256EEEvT1_T0_T2_T3_.num_agpr, 0
	.set _ZN4RAJA6policy3hip4impl18forallp_hip_kernelINS1_8hip_execINS_17iteration_mapping6DirectENS_3hip11IndexGlobalILNS_9named_dimE0ELi256ELi0EEENS7_40AvoidDeviceMaxThreadOccupancyConcretizerINS7_34FractionOffsetOccupancyConcretizerINS_8FractionImLm1ELm1EEELln1EEEEELb1EEENS_9Iterators16numeric_iteratorIllPlEEZN8rajaperf9algorithm6ATOMIC28runHipVariantReplicateGlobalILm256ELm4096EEEvNSM_9VariantIDEEUllE_lNS_4expt15ForallParamPackIJEEES6_SA_TnNSt9enable_ifIXaasr3std10is_base_ofINS5_10DirectBaseET4_EE5valuegtsrT5_10block_sizeLi0EEmE4typeELm256EEEvT1_T0_T2_T3_.numbered_sgpr, 8
	.set _ZN4RAJA6policy3hip4impl18forallp_hip_kernelINS1_8hip_execINS_17iteration_mapping6DirectENS_3hip11IndexGlobalILNS_9named_dimE0ELi256ELi0EEENS7_40AvoidDeviceMaxThreadOccupancyConcretizerINS7_34FractionOffsetOccupancyConcretizerINS_8FractionImLm1ELm1EEELln1EEEEELb1EEENS_9Iterators16numeric_iteratorIllPlEEZN8rajaperf9algorithm6ATOMIC28runHipVariantReplicateGlobalILm256ELm4096EEEvNSM_9VariantIDEEUllE_lNS_4expt15ForallParamPackIJEEES6_SA_TnNSt9enable_ifIXaasr3std10is_base_ofINS5_10DirectBaseET4_EE5valuegtsrT5_10block_sizeLi0EEmE4typeELm256EEEvT1_T0_T2_T3_.num_named_barrier, 0
	.set _ZN4RAJA6policy3hip4impl18forallp_hip_kernelINS1_8hip_execINS_17iteration_mapping6DirectENS_3hip11IndexGlobalILNS_9named_dimE0ELi256ELi0EEENS7_40AvoidDeviceMaxThreadOccupancyConcretizerINS7_34FractionOffsetOccupancyConcretizerINS_8FractionImLm1ELm1EEELln1EEEEELb1EEENS_9Iterators16numeric_iteratorIllPlEEZN8rajaperf9algorithm6ATOMIC28runHipVariantReplicateGlobalILm256ELm4096EEEvNSM_9VariantIDEEUllE_lNS_4expt15ForallParamPackIJEEES6_SA_TnNSt9enable_ifIXaasr3std10is_base_ofINS5_10DirectBaseET4_EE5valuegtsrT5_10block_sizeLi0EEmE4typeELm256EEEvT1_T0_T2_T3_.private_seg_size, 0
	.set _ZN4RAJA6policy3hip4impl18forallp_hip_kernelINS1_8hip_execINS_17iteration_mapping6DirectENS_3hip11IndexGlobalILNS_9named_dimE0ELi256ELi0EEENS7_40AvoidDeviceMaxThreadOccupancyConcretizerINS7_34FractionOffsetOccupancyConcretizerINS_8FractionImLm1ELm1EEELln1EEEEELb1EEENS_9Iterators16numeric_iteratorIllPlEEZN8rajaperf9algorithm6ATOMIC28runHipVariantReplicateGlobalILm256ELm4096EEEvNSM_9VariantIDEEUllE_lNS_4expt15ForallParamPackIJEEES6_SA_TnNSt9enable_ifIXaasr3std10is_base_ofINS5_10DirectBaseET4_EE5valuegtsrT5_10block_sizeLi0EEmE4typeELm256EEEvT1_T0_T2_T3_.uses_vcc, 1
	.set _ZN4RAJA6policy3hip4impl18forallp_hip_kernelINS1_8hip_execINS_17iteration_mapping6DirectENS_3hip11IndexGlobalILNS_9named_dimE0ELi256ELi0EEENS7_40AvoidDeviceMaxThreadOccupancyConcretizerINS7_34FractionOffsetOccupancyConcretizerINS_8FractionImLm1ELm1EEELln1EEEEELb1EEENS_9Iterators16numeric_iteratorIllPlEEZN8rajaperf9algorithm6ATOMIC28runHipVariantReplicateGlobalILm256ELm4096EEEvNSM_9VariantIDEEUllE_lNS_4expt15ForallParamPackIJEEES6_SA_TnNSt9enable_ifIXaasr3std10is_base_ofINS5_10DirectBaseET4_EE5valuegtsrT5_10block_sizeLi0EEmE4typeELm256EEEvT1_T0_T2_T3_.uses_flat_scratch, 0
	.set _ZN4RAJA6policy3hip4impl18forallp_hip_kernelINS1_8hip_execINS_17iteration_mapping6DirectENS_3hip11IndexGlobalILNS_9named_dimE0ELi256ELi0EEENS7_40AvoidDeviceMaxThreadOccupancyConcretizerINS7_34FractionOffsetOccupancyConcretizerINS_8FractionImLm1ELm1EEELln1EEEEELb1EEENS_9Iterators16numeric_iteratorIllPlEEZN8rajaperf9algorithm6ATOMIC28runHipVariantReplicateGlobalILm256ELm4096EEEvNSM_9VariantIDEEUllE_lNS_4expt15ForallParamPackIJEEES6_SA_TnNSt9enable_ifIXaasr3std10is_base_ofINS5_10DirectBaseET4_EE5valuegtsrT5_10block_sizeLi0EEmE4typeELm256EEEvT1_T0_T2_T3_.has_dyn_sized_stack, 0
	.set _ZN4RAJA6policy3hip4impl18forallp_hip_kernelINS1_8hip_execINS_17iteration_mapping6DirectENS_3hip11IndexGlobalILNS_9named_dimE0ELi256ELi0EEENS7_40AvoidDeviceMaxThreadOccupancyConcretizerINS7_34FractionOffsetOccupancyConcretizerINS_8FractionImLm1ELm1EEELln1EEEEELb1EEENS_9Iterators16numeric_iteratorIllPlEEZN8rajaperf9algorithm6ATOMIC28runHipVariantReplicateGlobalILm256ELm4096EEEvNSM_9VariantIDEEUllE_lNS_4expt15ForallParamPackIJEEES6_SA_TnNSt9enable_ifIXaasr3std10is_base_ofINS5_10DirectBaseET4_EE5valuegtsrT5_10block_sizeLi0EEmE4typeELm256EEEvT1_T0_T2_T3_.has_recursion, 0
	.set _ZN4RAJA6policy3hip4impl18forallp_hip_kernelINS1_8hip_execINS_17iteration_mapping6DirectENS_3hip11IndexGlobalILNS_9named_dimE0ELi256ELi0EEENS7_40AvoidDeviceMaxThreadOccupancyConcretizerINS7_34FractionOffsetOccupancyConcretizerINS_8FractionImLm1ELm1EEELln1EEEEELb1EEENS_9Iterators16numeric_iteratorIllPlEEZN8rajaperf9algorithm6ATOMIC28runHipVariantReplicateGlobalILm256ELm4096EEEvNSM_9VariantIDEEUllE_lNS_4expt15ForallParamPackIJEEES6_SA_TnNSt9enable_ifIXaasr3std10is_base_ofINS5_10DirectBaseET4_EE5valuegtsrT5_10block_sizeLi0EEmE4typeELm256EEEvT1_T0_T2_T3_.has_indirect_call, 0
	.section	.AMDGPU.csdata,"",@progbits
; Kernel info:
; codeLenInByte = 144
; TotalNumSgprs: 12
; NumVgprs: 6
; ScratchSize: 0
; MemoryBound: 0
; FloatMode: 240
; IeeeMode: 1
; LDSByteSize: 0 bytes/workgroup (compile time only)
; SGPRBlocks: 1
; VGPRBlocks: 1
; NumSGPRsForWavesPerEU: 12
; NumVGPRsForWavesPerEU: 6
; Occupancy: 10
; WaveLimiterHint : 0
; COMPUTE_PGM_RSRC2:SCRATCH_EN: 0
; COMPUTE_PGM_RSRC2:USER_SGPR: 6
; COMPUTE_PGM_RSRC2:TRAP_HANDLER: 0
; COMPUTE_PGM_RSRC2:TGID_X_EN: 1
; COMPUTE_PGM_RSRC2:TGID_Y_EN: 0
; COMPUTE_PGM_RSRC2:TGID_Z_EN: 0
; COMPUTE_PGM_RSRC2:TIDIG_COMP_CNT: 0
	.section	.text._ZN8rajaperf9algorithm21atomic_replicate_warpILm256ELm4096EEEvPdl,"axG",@progbits,_ZN8rajaperf9algorithm21atomic_replicate_warpILm256ELm4096EEEvPdl,comdat
	.protected	_ZN8rajaperf9algorithm21atomic_replicate_warpILm256ELm4096EEEvPdl ; -- Begin function _ZN8rajaperf9algorithm21atomic_replicate_warpILm256ELm4096EEEvPdl
	.globl	_ZN8rajaperf9algorithm21atomic_replicate_warpILm256ELm4096EEEvPdl
	.p2align	8
	.type	_ZN8rajaperf9algorithm21atomic_replicate_warpILm256ELm4096EEEvPdl,@function
_ZN8rajaperf9algorithm21atomic_replicate_warpILm256ELm4096EEEvPdl: ; @_ZN8rajaperf9algorithm21atomic_replicate_warpILm256ELm4096EEEvPdl
; %bb.0:
	s_load_dwordx4 s[0:3], s[4:5], 0x0
	s_mov_b32 s7, 0
	s_lshl_b64 s[4:5], s[6:7], 8
	v_or_b32_e32 v1, s4, v0
	v_mov_b32_e32 v2, s5
	s_waitcnt lgkmcnt(0)
	v_cmp_gt_i64_e32 vcc, s[2:3], v[1:2]
	v_mov_b32_e32 v4, 0x3ff00000
	v_mov_b32_e32 v3, 0
	v_cndmask_b32_e32 v4, 0, v4, vcc
	v_and_b32_e32 v0, 63, v0
	v_mov_b32_dpp v5, v3 quad_perm:[1,0,3,2] row_mask:0xf bank_mask:0xf
	v_mov_b32_dpp v6, v4 quad_perm:[1,0,3,2] row_mask:0xf bank_mask:0xf
	v_add_f64 v[2:3], v[3:4], v[5:6]
	v_cmp_eq_u32_e32 vcc, 0, v0
	s_nop 0
	v_mov_b32_dpp v4, v2 quad_perm:[2,3,0,1] row_mask:0xf bank_mask:0xf
	v_mov_b32_dpp v5, v3 quad_perm:[2,3,0,1] row_mask:0xf bank_mask:0xf
	v_add_f64 v[2:3], v[2:3], v[4:5]
	s_nop 1
	v_mov_b32_dpp v4, v2 row_ror:4 row_mask:0xf bank_mask:0xf
	v_mov_b32_dpp v5, v3 row_ror:4 row_mask:0xf bank_mask:0xf
	v_add_f64 v[2:3], v[2:3], v[4:5]
	s_nop 1
	v_mov_b32_dpp v4, v2 row_ror:8 row_mask:0xf bank_mask:0xf
	v_mov_b32_dpp v5, v3 row_ror:8 row_mask:0xf bank_mask:0xf
	v_add_f64 v[2:3], v[2:3], v[4:5]
	s_nop 1
	v_mov_b32_dpp v4, v2 row_bcast:15 row_mask:0xf bank_mask:0xf
	v_mov_b32_dpp v5, v3 row_bcast:15 row_mask:0xf bank_mask:0xf
	v_add_f64 v[2:3], v[2:3], v[4:5]
	s_nop 1
	v_mov_b32_dpp v4, v2 row_bcast:31 row_mask:0xf bank_mask:0xf
	v_mov_b32_dpp v5, v3 row_bcast:31 row_mask:0xf bank_mask:0xf
	v_add_f64 v[2:3], v[2:3], v[4:5]
	v_mbcnt_lo_u32_b32 v4, -1, 0
	v_bfrev_b32_e32 v5, 0.5
	v_mbcnt_hi_u32_b32 v4, -1, v4
	v_lshl_or_b32 v5, v4, 2, v5
	ds_bpermute_b32 v4, v5, v2
	ds_bpermute_b32 v5, v5, v3
	s_and_saveexec_b64 s[2:3], vcc
	s_cbranch_execz .LBB2_3
; %bb.1:
	v_lshrrev_b32_e32 v0, 3, v1
	v_and_b32_e32 v0, 0x7ff8, v0
	global_load_dwordx2 v[2:3], v0, s[0:1]
	v_mov_b32_e32 v1, s1
	v_add_co_u32_e32 v6, vcc, s0, v0
	v_addc_co_u32_e32 v7, vcc, 0, v1, vcc
	s_mov_b64 s[0:1], 0
.LBB2_2:                                ; =>This Inner Loop Header: Depth=1
	s_waitcnt vmcnt(0) lgkmcnt(0)
	v_add_f64 v[0:1], v[2:3], v[4:5]
	global_atomic_cmpswap_x2 v[0:1], v[6:7], v[0:3], off glc
	s_waitcnt vmcnt(0)
	v_cmp_eq_u64_e32 vcc, v[0:1], v[2:3]
	v_mov_b32_e32 v3, v1
	s_or_b64 s[0:1], vcc, s[0:1]
	v_mov_b32_e32 v2, v0
	s_andn2_b64 exec, exec, s[0:1]
	s_cbranch_execnz .LBB2_2
.LBB2_3:
	s_endpgm
	.section	.rodata,"a",@progbits
	.p2align	6, 0x0
	.amdhsa_kernel _ZN8rajaperf9algorithm21atomic_replicate_warpILm256ELm4096EEEvPdl
		.amdhsa_group_segment_fixed_size 0
		.amdhsa_private_segment_fixed_size 0
		.amdhsa_kernarg_size 16
		.amdhsa_user_sgpr_count 6
		.amdhsa_user_sgpr_private_segment_buffer 1
		.amdhsa_user_sgpr_dispatch_ptr 0
		.amdhsa_user_sgpr_queue_ptr 0
		.amdhsa_user_sgpr_kernarg_segment_ptr 1
		.amdhsa_user_sgpr_dispatch_id 0
		.amdhsa_user_sgpr_flat_scratch_init 0
		.amdhsa_user_sgpr_private_segment_size 0
		.amdhsa_uses_dynamic_stack 0
		.amdhsa_system_sgpr_private_segment_wavefront_offset 0
		.amdhsa_system_sgpr_workgroup_id_x 1
		.amdhsa_system_sgpr_workgroup_id_y 0
		.amdhsa_system_sgpr_workgroup_id_z 0
		.amdhsa_system_sgpr_workgroup_info 0
		.amdhsa_system_vgpr_workitem_id 0
		.amdhsa_next_free_vgpr 8
		.amdhsa_next_free_sgpr 8
		.amdhsa_reserve_vcc 1
		.amdhsa_reserve_flat_scratch 0
		.amdhsa_float_round_mode_32 0
		.amdhsa_float_round_mode_16_64 0
		.amdhsa_float_denorm_mode_32 3
		.amdhsa_float_denorm_mode_16_64 3
		.amdhsa_dx10_clamp 1
		.amdhsa_ieee_mode 1
		.amdhsa_fp16_overflow 0
		.amdhsa_exception_fp_ieee_invalid_op 0
		.amdhsa_exception_fp_denorm_src 0
		.amdhsa_exception_fp_ieee_div_zero 0
		.amdhsa_exception_fp_ieee_overflow 0
		.amdhsa_exception_fp_ieee_underflow 0
		.amdhsa_exception_fp_ieee_inexact 0
		.amdhsa_exception_int_div_zero 0
	.end_amdhsa_kernel
	.section	.text._ZN8rajaperf9algorithm21atomic_replicate_warpILm256ELm4096EEEvPdl,"axG",@progbits,_ZN8rajaperf9algorithm21atomic_replicate_warpILm256ELm4096EEEvPdl,comdat
.Lfunc_end2:
	.size	_ZN8rajaperf9algorithm21atomic_replicate_warpILm256ELm4096EEEvPdl, .Lfunc_end2-_ZN8rajaperf9algorithm21atomic_replicate_warpILm256ELm4096EEEvPdl
                                        ; -- End function
	.set _ZN8rajaperf9algorithm21atomic_replicate_warpILm256ELm4096EEEvPdl.num_vgpr, 8
	.set _ZN8rajaperf9algorithm21atomic_replicate_warpILm256ELm4096EEEvPdl.num_agpr, 0
	.set _ZN8rajaperf9algorithm21atomic_replicate_warpILm256ELm4096EEEvPdl.numbered_sgpr, 8
	.set _ZN8rajaperf9algorithm21atomic_replicate_warpILm256ELm4096EEEvPdl.num_named_barrier, 0
	.set _ZN8rajaperf9algorithm21atomic_replicate_warpILm256ELm4096EEEvPdl.private_seg_size, 0
	.set _ZN8rajaperf9algorithm21atomic_replicate_warpILm256ELm4096EEEvPdl.uses_vcc, 1
	.set _ZN8rajaperf9algorithm21atomic_replicate_warpILm256ELm4096EEEvPdl.uses_flat_scratch, 0
	.set _ZN8rajaperf9algorithm21atomic_replicate_warpILm256ELm4096EEEvPdl.has_dyn_sized_stack, 0
	.set _ZN8rajaperf9algorithm21atomic_replicate_warpILm256ELm4096EEEvPdl.has_recursion, 0
	.set _ZN8rajaperf9algorithm21atomic_replicate_warpILm256ELm4096EEEvPdl.has_indirect_call, 0
	.section	.AMDGPU.csdata,"",@progbits
; Kernel info:
; codeLenInByte = 360
; TotalNumSgprs: 12
; NumVgprs: 8
; ScratchSize: 0
; MemoryBound: 0
; FloatMode: 240
; IeeeMode: 1
; LDSByteSize: 0 bytes/workgroup (compile time only)
; SGPRBlocks: 1
; VGPRBlocks: 1
; NumSGPRsForWavesPerEU: 12
; NumVGPRsForWavesPerEU: 8
; Occupancy: 10
; WaveLimiterHint : 0
; COMPUTE_PGM_RSRC2:SCRATCH_EN: 0
; COMPUTE_PGM_RSRC2:USER_SGPR: 6
; COMPUTE_PGM_RSRC2:TRAP_HANDLER: 0
; COMPUTE_PGM_RSRC2:TGID_X_EN: 1
; COMPUTE_PGM_RSRC2:TGID_Y_EN: 0
; COMPUTE_PGM_RSRC2:TGID_Z_EN: 0
; COMPUTE_PGM_RSRC2:TIDIG_COMP_CNT: 0
	.section	.text._ZN8rajaperf9algorithm22atomic_replicate_blockILm256ELm4096EEEvPdl,"axG",@progbits,_ZN8rajaperf9algorithm22atomic_replicate_blockILm256ELm4096EEEvPdl,comdat
	.protected	_ZN8rajaperf9algorithm22atomic_replicate_blockILm256ELm4096EEEvPdl ; -- Begin function _ZN8rajaperf9algorithm22atomic_replicate_blockILm256ELm4096EEEvPdl
	.globl	_ZN8rajaperf9algorithm22atomic_replicate_blockILm256ELm4096EEEvPdl
	.p2align	8
	.type	_ZN8rajaperf9algorithm22atomic_replicate_blockILm256ELm4096EEEvPdl,@function
_ZN8rajaperf9algorithm22atomic_replicate_blockILm256ELm4096EEEvPdl: ; @_ZN8rajaperf9algorithm22atomic_replicate_blockILm256ELm4096EEEvPdl
; %bb.0:
	s_load_dwordx4 s[0:3], s[4:5], 0x0
	s_mov_b32 s7, 0
	s_lshl_b64 s[4:5], s[6:7], 8
	v_or_b32_e32 v1, s4, v0
	v_mov_b32_e32 v2, s5
	s_waitcnt lgkmcnt(0)
	v_cmp_gt_i64_e32 vcc, s[2:3], v[1:2]
	v_mov_b32_e32 v4, 0x3ff00000
	v_mov_b32_e32 v3, 0
	v_cndmask_b32_e32 v4, 0, v4, vcc
	s_nop 0
	v_mov_b32_dpp v1, v3 quad_perm:[1,0,3,2] row_mask:0xf bank_mask:0xf
	v_mov_b32_dpp v2, v4 quad_perm:[1,0,3,2] row_mask:0xf bank_mask:0xf
	v_add_f64 v[1:2], v[3:4], v[1:2]
	s_nop 1
	v_mov_b32_dpp v3, v1 quad_perm:[2,3,0,1] row_mask:0xf bank_mask:0xf
	v_mov_b32_dpp v4, v2 quad_perm:[2,3,0,1] row_mask:0xf bank_mask:0xf
	v_add_f64 v[1:2], v[1:2], v[3:4]
	s_nop 1
	v_mov_b32_dpp v3, v1 row_ror:4 row_mask:0xf bank_mask:0xf
	v_mov_b32_dpp v4, v2 row_ror:4 row_mask:0xf bank_mask:0xf
	v_add_f64 v[1:2], v[1:2], v[3:4]
	s_nop 1
	v_mov_b32_dpp v3, v1 row_ror:8 row_mask:0xf bank_mask:0xf
	v_mov_b32_dpp v4, v2 row_ror:8 row_mask:0xf bank_mask:0xf
	v_add_f64 v[1:2], v[1:2], v[3:4]
	s_nop 1
	v_mov_b32_dpp v3, v1 row_bcast:15 row_mask:0xf bank_mask:0xf
	v_mov_b32_dpp v4, v2 row_bcast:15 row_mask:0xf bank_mask:0xf
	v_add_f64 v[1:2], v[1:2], v[3:4]
	s_nop 1
	v_mov_b32_dpp v3, v1 row_bcast:31 row_mask:0xf bank_mask:0xf
	v_mov_b32_dpp v4, v2 row_bcast:31 row_mask:0xf bank_mask:0xf
	v_add_f64 v[1:2], v[1:2], v[3:4]
	v_mbcnt_lo_u32_b32 v3, -1, 0
	v_mbcnt_hi_u32_b32 v4, -1, v3
	v_lshlrev_b32_e32 v3, 2, v4
	v_or_b32_e32 v5, 0xfc, v3
	v_cmp_eq_u32_e32 vcc, 0, v4
	ds_bpermute_b32 v1, v5, v1
	ds_bpermute_b32 v2, v5, v2
	s_and_saveexec_b64 s[2:3], vcc
	s_cbranch_execz .LBB3_2
; %bb.1:
	v_lshrrev_b32_e32 v5, 3, v0
	v_and_b32_e32 v5, 0x1ffffff8, v5
	s_waitcnt lgkmcnt(0)
	ds_write_b64 v5, v[1:2]
.LBB3_2:
	s_or_b64 exec, exec, s[2:3]
	v_cmp_gt_u32_e32 vcc, 64, v0
	s_waitcnt lgkmcnt(0)
	s_barrier
	s_and_saveexec_b64 s[2:3], vcc
	s_cbranch_execz .LBB3_4
; %bb.3:
	v_and_b32_e32 v5, 3, v4
	v_lshlrev_b32_e32 v1, 3, v5
	ds_read_b64 v[1:2], v1
	v_cmp_ne_u32_e32 vcc, 3, v5
	v_addc_co_u32_e32 v4, vcc, 0, v4, vcc
	v_lshlrev_b32_e32 v5, 2, v4
	s_waitcnt lgkmcnt(0)
	ds_bpermute_b32 v4, v5, v1
	ds_bpermute_b32 v5, v5, v2
	s_waitcnt lgkmcnt(0)
	v_add_f64 v[1:2], v[1:2], v[4:5]
	v_or_b32_e32 v4, 8, v3
	ds_bpermute_b32 v3, v4, v1
	ds_bpermute_b32 v4, v4, v2
	s_waitcnt lgkmcnt(0)
	v_add_f64 v[1:2], v[1:2], v[3:4]
.LBB3_4:
	s_or_b64 exec, exec, s[2:3]
	v_cmp_eq_u32_e32 vcc, 0, v0
	s_and_saveexec_b64 s[2:3], vcc
	s_cbranch_execz .LBB3_10
; %bb.5:
	v_mov_b32_e32 v4, 0
	s_mov_b64 s[2:3], exec
	v_bfrev_b32_e32 v5, 1
.LBB3_6:                                ; =>This Inner Loop Header: Depth=1
	s_ff1_i32_b64 s7, s[2:3]
	v_readlane_b32 s5, v2, s7
	v_readlane_b32 s4, v1, s7
	v_add_f64 v[4:5], v[4:5], s[4:5]
	s_lshl_b64 s[4:5], 1, s7
	s_andn2_b64 s[2:3], s[2:3], s[4:5]
	s_cmp_lg_u64 s[2:3], 0
	s_cbranch_scc1 .LBB3_6
; %bb.7:
	v_mbcnt_lo_u32_b32 v0, exec_lo, 0
	v_mbcnt_hi_u32_b32 v0, exec_hi, v0
	v_cmp_eq_u32_e32 vcc, 0, v0
	s_and_saveexec_b64 s[2:3], vcc
	s_xor_b64 s[2:3], exec, s[2:3]
	s_cbranch_execz .LBB3_10
; %bb.8:
	s_and_b32 s2, s6, 0xfff
	s_lshl_b32 s6, s2, 3
	s_load_dwordx2 s[4:5], s[0:1], s6 offset:0x0
	s_add_u32 s0, s0, s6
	s_mov_b64 s[2:3], 0
	s_addc_u32 s1, s1, 0
	v_mov_b32_e32 v6, 0
	s_waitcnt lgkmcnt(0)
	v_mov_b32_e32 v2, s4
	v_mov_b32_e32 v3, s5
.LBB3_9:                                ; =>This Inner Loop Header: Depth=1
	v_add_f64 v[0:1], v[2:3], v[4:5]
	global_atomic_cmpswap_x2 v[0:1], v6, v[0:3], s[0:1] glc
	s_waitcnt vmcnt(0)
	v_cmp_eq_u64_e32 vcc, v[0:1], v[2:3]
	v_mov_b32_e32 v3, v1
	s_or_b64 s[2:3], vcc, s[2:3]
	v_mov_b32_e32 v2, v0
	s_andn2_b64 exec, exec, s[2:3]
	s_cbranch_execnz .LBB3_9
.LBB3_10:
	s_endpgm
	.section	.rodata,"a",@progbits
	.p2align	6, 0x0
	.amdhsa_kernel _ZN8rajaperf9algorithm22atomic_replicate_blockILm256ELm4096EEEvPdl
		.amdhsa_group_segment_fixed_size 32
		.amdhsa_private_segment_fixed_size 0
		.amdhsa_kernarg_size 16
		.amdhsa_user_sgpr_count 6
		.amdhsa_user_sgpr_private_segment_buffer 1
		.amdhsa_user_sgpr_dispatch_ptr 0
		.amdhsa_user_sgpr_queue_ptr 0
		.amdhsa_user_sgpr_kernarg_segment_ptr 1
		.amdhsa_user_sgpr_dispatch_id 0
		.amdhsa_user_sgpr_flat_scratch_init 0
		.amdhsa_user_sgpr_private_segment_size 0
		.amdhsa_uses_dynamic_stack 0
		.amdhsa_system_sgpr_private_segment_wavefront_offset 0
		.amdhsa_system_sgpr_workgroup_id_x 1
		.amdhsa_system_sgpr_workgroup_id_y 0
		.amdhsa_system_sgpr_workgroup_id_z 0
		.amdhsa_system_sgpr_workgroup_info 0
		.amdhsa_system_vgpr_workitem_id 0
		.amdhsa_next_free_vgpr 7
		.amdhsa_next_free_sgpr 8
		.amdhsa_reserve_vcc 1
		.amdhsa_reserve_flat_scratch 0
		.amdhsa_float_round_mode_32 0
		.amdhsa_float_round_mode_16_64 0
		.amdhsa_float_denorm_mode_32 3
		.amdhsa_float_denorm_mode_16_64 3
		.amdhsa_dx10_clamp 1
		.amdhsa_ieee_mode 1
		.amdhsa_fp16_overflow 0
		.amdhsa_exception_fp_ieee_invalid_op 0
		.amdhsa_exception_fp_denorm_src 0
		.amdhsa_exception_fp_ieee_div_zero 0
		.amdhsa_exception_fp_ieee_overflow 0
		.amdhsa_exception_fp_ieee_underflow 0
		.amdhsa_exception_fp_ieee_inexact 0
		.amdhsa_exception_int_div_zero 0
	.end_amdhsa_kernel
	.section	.text._ZN8rajaperf9algorithm22atomic_replicate_blockILm256ELm4096EEEvPdl,"axG",@progbits,_ZN8rajaperf9algorithm22atomic_replicate_blockILm256ELm4096EEEvPdl,comdat
.Lfunc_end3:
	.size	_ZN8rajaperf9algorithm22atomic_replicate_blockILm256ELm4096EEEvPdl, .Lfunc_end3-_ZN8rajaperf9algorithm22atomic_replicate_blockILm256ELm4096EEEvPdl
                                        ; -- End function
	.set _ZN8rajaperf9algorithm22atomic_replicate_blockILm256ELm4096EEEvPdl.num_vgpr, 7
	.set _ZN8rajaperf9algorithm22atomic_replicate_blockILm256ELm4096EEEvPdl.num_agpr, 0
	.set _ZN8rajaperf9algorithm22atomic_replicate_blockILm256ELm4096EEEvPdl.numbered_sgpr, 8
	.set _ZN8rajaperf9algorithm22atomic_replicate_blockILm256ELm4096EEEvPdl.num_named_barrier, 0
	.set _ZN8rajaperf9algorithm22atomic_replicate_blockILm256ELm4096EEEvPdl.private_seg_size, 0
	.set _ZN8rajaperf9algorithm22atomic_replicate_blockILm256ELm4096EEEvPdl.uses_vcc, 1
	.set _ZN8rajaperf9algorithm22atomic_replicate_blockILm256ELm4096EEEvPdl.uses_flat_scratch, 0
	.set _ZN8rajaperf9algorithm22atomic_replicate_blockILm256ELm4096EEEvPdl.has_dyn_sized_stack, 0
	.set _ZN8rajaperf9algorithm22atomic_replicate_blockILm256ELm4096EEEvPdl.has_recursion, 0
	.set _ZN8rajaperf9algorithm22atomic_replicate_blockILm256ELm4096EEEvPdl.has_indirect_call, 0
	.section	.AMDGPU.csdata,"",@progbits
; Kernel info:
; codeLenInByte = 612
; TotalNumSgprs: 12
; NumVgprs: 7
; ScratchSize: 0
; MemoryBound: 0
; FloatMode: 240
; IeeeMode: 1
; LDSByteSize: 32 bytes/workgroup (compile time only)
; SGPRBlocks: 1
; VGPRBlocks: 1
; NumSGPRsForWavesPerEU: 12
; NumVGPRsForWavesPerEU: 7
; Occupancy: 10
; WaveLimiterHint : 0
; COMPUTE_PGM_RSRC2:SCRATCH_EN: 0
; COMPUTE_PGM_RSRC2:USER_SGPR: 6
; COMPUTE_PGM_RSRC2:TRAP_HANDLER: 0
; COMPUTE_PGM_RSRC2:TGID_X_EN: 1
; COMPUTE_PGM_RSRC2:TGID_Y_EN: 0
; COMPUTE_PGM_RSRC2:TGID_Z_EN: 0
; COMPUTE_PGM_RSRC2:TIDIG_COMP_CNT: 0
	.section	.AMDGPU.gpr_maximums,"",@progbits
	.set amdgpu.max_num_vgpr, 0
	.set amdgpu.max_num_agpr, 0
	.set amdgpu.max_num_sgpr, 0
	.section	.AMDGPU.csdata,"",@progbits
	.type	__hip_cuid_948ba934e5f458b7,@object ; @__hip_cuid_948ba934e5f458b7
	.section	.bss,"aw",@nobits
	.globl	__hip_cuid_948ba934e5f458b7
__hip_cuid_948ba934e5f458b7:
	.byte	0                               ; 0x0
	.size	__hip_cuid_948ba934e5f458b7, 1

	.ident	"AMD clang version 22.0.0git (https://github.com/RadeonOpenCompute/llvm-project roc-7.2.4 26084 f58b06dce1f9c15707c5f808fd002e18c2accf7e)"
	.section	".note.GNU-stack","",@progbits
	.addrsig
	.addrsig_sym __hip_cuid_948ba934e5f458b7
	.amdgpu_metadata
---
amdhsa.kernels:
  - .args:
      - .address_space:  global
        .offset:         0
        .size:           8
        .value_kind:     global_buffer
      - .offset:         8
        .size:           8
        .value_kind:     by_value
    .group_segment_fixed_size: 0
    .kernarg_segment_align: 8
    .kernarg_segment_size: 16
    .language:       OpenCL C
    .language_version:
      - 2
      - 0
    .max_flat_workgroup_size: 256
    .name:           _ZN8rajaperf9algorithm23atomic_replicate_threadILm256ELm4096EEEvPdl
    .private_segment_fixed_size: 0
    .sgpr_count:     12
    .sgpr_spill_count: 0
    .symbol:         _ZN8rajaperf9algorithm23atomic_replicate_threadILm256ELm4096EEEvPdl.kd
    .uniform_work_group_size: 1
    .uses_dynamic_stack: false
    .vgpr_count:     6
    .vgpr_spill_count: 0
    .wavefront_size: 64
  - .args:
      - .address_space:  global
        .offset:         0
        .size:           8
        .value_kind:     global_buffer
      - .offset:         8
        .size:           8
        .value_kind:     by_value
      - .offset:         16
        .size:           8
        .value_kind:     by_value
      - .offset:         24
        .size:           1
        .value_kind:     by_value
    .group_segment_fixed_size: 0
    .kernarg_segment_align: 8
    .kernarg_segment_size: 28
    .language:       OpenCL C
    .language_version:
      - 2
      - 0
    .max_flat_workgroup_size: 256
    .name:           _ZN4RAJA6policy3hip4impl18forallp_hip_kernelINS1_8hip_execINS_17iteration_mapping6DirectENS_3hip11IndexGlobalILNS_9named_dimE0ELi256ELi0EEENS7_40AvoidDeviceMaxThreadOccupancyConcretizerINS7_34FractionOffsetOccupancyConcretizerINS_8FractionImLm1ELm1EEELln1EEEEELb1EEENS_9Iterators16numeric_iteratorIllPlEEZN8rajaperf9algorithm6ATOMIC28runHipVariantReplicateGlobalILm256ELm4096EEEvNSM_9VariantIDEEUllE_lNS_4expt15ForallParamPackIJEEES6_SA_TnNSt9enable_ifIXaasr3std10is_base_ofINS5_10DirectBaseET4_EE5valuegtsrT5_10block_sizeLi0EEmE4typeELm256EEEvT1_T0_T2_T3_
    .private_segment_fixed_size: 0
    .sgpr_count:     12
    .sgpr_spill_count: 0
    .symbol:         _ZN4RAJA6policy3hip4impl18forallp_hip_kernelINS1_8hip_execINS_17iteration_mapping6DirectENS_3hip11IndexGlobalILNS_9named_dimE0ELi256ELi0EEENS7_40AvoidDeviceMaxThreadOccupancyConcretizerINS7_34FractionOffsetOccupancyConcretizerINS_8FractionImLm1ELm1EEELln1EEEEELb1EEENS_9Iterators16numeric_iteratorIllPlEEZN8rajaperf9algorithm6ATOMIC28runHipVariantReplicateGlobalILm256ELm4096EEEvNSM_9VariantIDEEUllE_lNS_4expt15ForallParamPackIJEEES6_SA_TnNSt9enable_ifIXaasr3std10is_base_ofINS5_10DirectBaseET4_EE5valuegtsrT5_10block_sizeLi0EEmE4typeELm256EEEvT1_T0_T2_T3_.kd
    .uniform_work_group_size: 1
    .uses_dynamic_stack: false
    .vgpr_count:     6
    .vgpr_spill_count: 0
    .wavefront_size: 64
  - .args:
      - .address_space:  global
        .offset:         0
        .size:           8
        .value_kind:     global_buffer
      - .offset:         8
        .size:           8
        .value_kind:     by_value
    .group_segment_fixed_size: 0
    .kernarg_segment_align: 8
    .kernarg_segment_size: 16
    .language:       OpenCL C
    .language_version:
      - 2
      - 0
    .max_flat_workgroup_size: 256
    .name:           _ZN8rajaperf9algorithm21atomic_replicate_warpILm256ELm4096EEEvPdl
    .private_segment_fixed_size: 0
    .sgpr_count:     12
    .sgpr_spill_count: 0
    .symbol:         _ZN8rajaperf9algorithm21atomic_replicate_warpILm256ELm4096EEEvPdl.kd
    .uniform_work_group_size: 1
    .uses_dynamic_stack: false
    .vgpr_count:     8
    .vgpr_spill_count: 0
    .wavefront_size: 64
  - .args:
      - .address_space:  global
        .offset:         0
        .size:           8
        .value_kind:     global_buffer
      - .offset:         8
        .size:           8
        .value_kind:     by_value
    .group_segment_fixed_size: 32
    .kernarg_segment_align: 8
    .kernarg_segment_size: 16
    .language:       OpenCL C
    .language_version:
      - 2
      - 0
    .max_flat_workgroup_size: 256
    .name:           _ZN8rajaperf9algorithm22atomic_replicate_blockILm256ELm4096EEEvPdl
    .private_segment_fixed_size: 0
    .sgpr_count:     12
    .sgpr_spill_count: 0
    .symbol:         _ZN8rajaperf9algorithm22atomic_replicate_blockILm256ELm4096EEEvPdl.kd
    .uniform_work_group_size: 1
    .uses_dynamic_stack: false
    .vgpr_count:     7
    .vgpr_spill_count: 0
    .wavefront_size: 64
amdhsa.target:   amdgcn-amd-amdhsa--gfx906
amdhsa.version:
  - 1
  - 2
...

	.end_amdgpu_metadata
